;; amdgpu-corpus repo=zjin-lcf/HeCBench kind=compiled arch=gfx950 opt=O3
	.amdgcn_target "amdgcn-amd-amdhsa--gfx950"
	.amdhsa_code_object_version 6
	.text
	.protected	_Z10chi_kerneljjiiPKhPf ; -- Begin function _Z10chi_kerneljjiiPKhPf
	.globl	_Z10chi_kerneljjiiPKhPf
	.p2align	8
	.type	_Z10chi_kerneljjiiPKhPf,@function
_Z10chi_kerneljjiiPKhPf:                ; @_Z10chi_kerneljjiiPKhPf
; %bb.0:
	s_load_dword s3, s[0:1], 0x2c
	s_load_dwordx4 s[4:7], s[0:1], 0x4
	s_waitcnt lgkmcnt(0)
	s_and_b32 s3, s3, 0xffff
	s_mul_i32 s2, s2, s3
	v_add_u32_e32 v0, s2, v0
	v_cmp_gt_u32_e32 vcc, s4, v0
	s_and_saveexec_b64 s[2:3], vcc
	s_cbranch_execz .LBB0_46
; %bb.1:
	s_load_dwordx2 s[2:3], s[0:1], 0x10
	s_cmp_lt_i32 s5, 1
	v_ashrrev_i32_e32 v1, 31, v0
	s_cbranch_scc1 .LBB0_6
; %bb.2:
	s_cmp_eq_u32 s5, 1
	s_cselect_b64 s[8:9], -1, 0
	s_cmp_lg_u32 s4, 1
	s_cselect_b64 s[10:11], -1, 0
	s_or_b64 s[8:9], s[8:9], s[10:11]
	s_and_b64 vcc, exec, s[8:9]
	s_cbranch_vccnz .LBB0_7
; %bb.3:
	s_and_b32 s10, s5, 0x7ffffffe
	s_waitcnt lgkmcnt(0)
	v_lshl_add_u64 v[2:3], s[2:3], 0, v[0:1]
	v_mov_b32_e32 v4, 0
	v_mov_b32_e32 v5, 1
	;; [unrolled: 1-line block ×5, first 2 shown]
	s_mov_b32 s7, s10
	v_mov_b32_e32 v9, 1
	v_mov_b32_e32 v10, 0
	;; [unrolled: 1-line block ×4, first 2 shown]
.LBB0_4:                                ; =>This Inner Loop Header: Depth=1
	global_load_ushort v13, v[2:3], off
	s_add_i32 s7, s7, -2
	v_lshl_add_u64 v[2:3], v[2:3], 0, 2
	s_cmp_lg_u32 s7, 0
	s_waitcnt vmcnt(0)
	v_cmp_eq_u16_sdwa vcc, v13, v7 src0_sel:BYTE_1 src1_sel:DWORD
	s_nop 1
	v_addc_co_u32_e32 v4, vcc, 0, v4, vcc
	v_cmp_eq_u16_sdwa vcc, v13, v7 src0_sel:BYTE_0 src1_sel:DWORD
	s_nop 1
	v_addc_co_u32_e32 v5, vcc, 0, v5, vcc
	v_cmp_eq_u16_sdwa vcc, v13, v8 src0_sel:BYTE_1 src1_sel:DWORD
	s_nop 1
	v_addc_co_u32_e32 v10, vcc, 0, v10, vcc
	v_cmp_eq_u16_sdwa vcc, v13, v8 src0_sel:BYTE_0 src1_sel:DWORD
	s_nop 1
	v_addc_co_u32_e32 v9, vcc, 0, v9, vcc
	;; [unrolled: 6-line block ×3, first 2 shown]
	s_cbranch_scc1 .LBB0_4
; %bb.5:
	s_cmp_lg_u32 s5, s10
	v_add_u32_e32 v2, v5, v4
	v_add_u32_e32 v3, v9, v10
	;; [unrolled: 1-line block ×3, first 2 shown]
	s_cselect_b64 s[8:9], -1, 0
	s_and_b64 vcc, exec, s[8:9]
	s_cbranch_vccnz .LBB0_8
	s_branch .LBB0_22
.LBB0_6:
	v_mov_b32_e32 v4, 1
	v_mov_b32_e32 v5, v4
	v_mov_b64_e32 v[2:3], v[4:5]
	s_branch .LBB0_22
.LBB0_7:
	v_mov_b32_e32 v2, 1
	v_mov_b32_e32 v3, v2
	s_mov_b32 s10, 0
	v_mov_b32_e32 v4, v2
	s_cbranch_execz .LBB0_22
.LBB0_8:
	s_sub_i32 s7, s5, s10
	s_mul_hi_u32 s11, s10, s4
	s_mul_i32 s10, s10, s4
	s_waitcnt lgkmcnt(0)
	s_add_u32 s10, s2, s10
	s_addc_u32 s11, s3, s11
	s_mov_b32 s9, 0
	s_mov_b32 s8, s4
	v_lshl_add_u64 v[6:7], s[10:11], 0, v[0:1]
	s_branch .LBB0_11
.LBB0_9:                                ;   in Loop: Header=BB0_11 Depth=1
	s_or_b64 exec, exec, s[12:13]
.LBB0_10:                               ;   in Loop: Header=BB0_11 Depth=1
	s_or_b64 exec, exec, s[10:11]
	s_add_i32 s7, s7, -1
	s_cmp_eq_u32 s7, 0
	v_lshl_add_u64 v[6:7], v[6:7], 0, s[8:9]
	s_cbranch_scc1 .LBB0_22
.LBB0_11:                               ; =>This Inner Loop Header: Depth=1
	global_load_ubyte v5, v[6:7], off
	s_waitcnt vmcnt(0)
	v_cmp_lt_i16_e32 vcc, 48, v5
	s_and_saveexec_b64 s[10:11], vcc
	s_xor_b64 s[10:11], exec, s[10:11]
	s_cbranch_execz .LBB0_19
; %bb.12:                               ;   in Loop: Header=BB0_11 Depth=1
	v_cmp_lt_i16_e32 vcc, 49, v5
	s_and_saveexec_b64 s[12:13], vcc
	s_xor_b64 s[12:13], exec, s[12:13]
	s_cbranch_execz .LBB0_16
; %bb.13:                               ;   in Loop: Header=BB0_11 Depth=1
	v_cmp_eq_u16_e32 vcc, 50, v5
	s_and_saveexec_b64 s[14:15], vcc
; %bb.14:                               ;   in Loop: Header=BB0_11 Depth=1
	v_add_u32_e32 v3, 1, v3
; %bb.15:                               ;   in Loop: Header=BB0_11 Depth=1
	s_or_b64 exec, exec, s[14:15]
.LBB0_16:                               ;   in Loop: Header=BB0_11 Depth=1
	s_andn2_saveexec_b64 s[12:13], s[12:13]
; %bb.17:                               ;   in Loop: Header=BB0_11 Depth=1
	v_add_u32_e32 v2, 1, v2
; %bb.18:                               ;   in Loop: Header=BB0_11 Depth=1
	s_or_b64 exec, exec, s[12:13]
                                        ; implicit-def: $vgpr5
.LBB0_19:                               ;   in Loop: Header=BB0_11 Depth=1
	s_andn2_saveexec_b64 s[10:11], s[10:11]
	s_cbranch_execz .LBB0_10
; %bb.20:                               ;   in Loop: Header=BB0_11 Depth=1
	v_cmp_eq_u16_e32 vcc, 48, v5
	s_and_saveexec_b64 s[12:13], vcc
	s_cbranch_execz .LBB0_9
; %bb.21:                               ;   in Loop: Header=BB0_11 Depth=1
	v_add_u32_e32 v4, 1, v4
	s_branch .LBB0_9
.LBB0_22:
	s_load_dwordx2 s[0:1], s[0:1], 0x18
	s_cmp_gt_i32 s6, 0
	s_cbranch_scc1 .LBB0_25
; %bb.23:
	s_cbranch_execz .LBB0_26
; %bb.24:
	v_mov_b32_e32 v8, 1
	v_mov_b32_e32 v9, v8
	v_mov_b64_e32 v[6:7], v[8:9]
	s_branch .LBB0_45
.LBB0_25:
.LBB0_26:
	s_add_i32 s12, s6, s5
	s_add_i32 s6, s5, 1
	s_max_i32 s6, s12, s6
	s_sub_i32 s8, s6, s5
	s_cmp_lt_u32 s8, 2
	s_cselect_b64 s[6:7], -1, 0
	s_cmp_lg_u32 s4, 1
	s_cselect_b64 s[10:11], -1, 0
	s_or_b64 s[6:7], s[6:7], s[10:11]
	s_and_b64 vcc, exec, s[6:7]
	s_cbranch_vccnz .LBB0_30
; %bb.27:
	s_and_b32 s9, s8, -2
	s_waitcnt lgkmcnt(0)
	v_lshl_add_u64 v[6:7], s[2:3], 0, v[0:1]
	v_mov_b32_e32 v5, 0
	v_mov_b32_e32 v8, 1
	;; [unrolled: 1-line block ×5, first 2 shown]
	s_mov_b32 s6, s5
	s_mov_b32 s10, s9
	v_mov_b32_e32 v12, 1
	v_mov_b32_e32 v13, 0
	;; [unrolled: 1-line block ×4, first 2 shown]
.LBB0_28:                               ; =>This Inner Loop Header: Depth=1
	s_ashr_i32 s7, s6, 31
	v_lshl_add_u64 v[16:17], v[6:7], 0, s[6:7]
	global_load_ushort v16, v[16:17], off
	s_add_i32 s10, s10, -2
	s_add_i32 s6, s6, 2
	s_cmp_lg_u32 s10, 0
	s_waitcnt vmcnt(0)
	v_cmp_eq_u16_sdwa vcc, v16, v10 src0_sel:BYTE_1 src1_sel:DWORD
	s_nop 1
	v_addc_co_u32_e32 v5, vcc, 0, v5, vcc
	v_cmp_eq_u16_sdwa vcc, v16, v10 src0_sel:BYTE_0 src1_sel:DWORD
	s_nop 1
	v_addc_co_u32_e32 v8, vcc, 0, v8, vcc
	v_cmp_eq_u16_sdwa vcc, v16, v11 src0_sel:BYTE_1 src1_sel:DWORD
	s_nop 1
	v_addc_co_u32_e32 v13, vcc, 0, v13, vcc
	v_cmp_eq_u16_sdwa vcc, v16, v11 src0_sel:BYTE_0 src1_sel:DWORD
	s_nop 1
	v_addc_co_u32_e32 v12, vcc, 0, v12, vcc
	;; [unrolled: 6-line block ×3, first 2 shown]
	s_cbranch_scc1 .LBB0_28
; %bb.29:
	s_add_i32 s5, s5, s9
	s_cmp_lg_u32 s8, s9
	v_add_u32_e32 v6, v8, v5
	v_add_u32_e32 v7, v12, v13
	;; [unrolled: 1-line block ×3, first 2 shown]
	s_cselect_b64 s[6:7], -1, 0
	s_and_b64 vcc, exec, s[6:7]
	s_cbranch_vccnz .LBB0_31
	s_branch .LBB0_45
.LBB0_30:
	v_mov_b32_e32 v6, 1
	v_mov_b32_e32 v7, v6
	;; [unrolled: 1-line block ×3, first 2 shown]
	s_cbranch_execz .LBB0_45
.LBB0_31:
	s_ashr_i32 s8, s5, 31
	s_mul_hi_u32 s9, s5, s4
	s_mul_i32 s8, s8, s4
	s_mov_b32 s6, s4
	s_add_i32 s9, s9, s8
	s_mul_i32 s4, s5, s4
	s_waitcnt lgkmcnt(0)
	s_add_u32 s2, s2, s4
	s_addc_u32 s3, s3, s9
	s_mov_b32 s7, 0
	v_lshl_add_u64 v[10:11], s[2:3], 0, v[0:1]
	s_branch .LBB0_34
.LBB0_32:                               ;   in Loop: Header=BB0_34 Depth=1
	s_or_b64 exec, exec, s[8:9]
.LBB0_33:                               ;   in Loop: Header=BB0_34 Depth=1
	s_or_b64 exec, exec, s[2:3]
	s_add_i32 s5, s5, 1
	s_cmp_ge_i32 s5, s12
	v_lshl_add_u64 v[10:11], v[10:11], 0, s[6:7]
	s_cbranch_scc1 .LBB0_45
.LBB0_34:                               ; =>This Inner Loop Header: Depth=1
	global_load_ubyte v5, v[10:11], off
	s_waitcnt vmcnt(0)
	v_cmp_lt_i16_e32 vcc, 48, v5
	s_and_saveexec_b64 s[2:3], vcc
	s_xor_b64 s[2:3], exec, s[2:3]
	s_cbranch_execz .LBB0_42
; %bb.35:                               ;   in Loop: Header=BB0_34 Depth=1
	v_cmp_lt_i16_e32 vcc, 49, v5
	s_and_saveexec_b64 s[8:9], vcc
	s_xor_b64 s[8:9], exec, s[8:9]
	s_cbranch_execz .LBB0_39
; %bb.36:                               ;   in Loop: Header=BB0_34 Depth=1
	v_cmp_eq_u16_e32 vcc, 50, v5
	s_and_saveexec_b64 s[10:11], vcc
; %bb.37:                               ;   in Loop: Header=BB0_34 Depth=1
	v_add_u32_e32 v7, 1, v7
; %bb.38:                               ;   in Loop: Header=BB0_34 Depth=1
	s_or_b64 exec, exec, s[10:11]
.LBB0_39:                               ;   in Loop: Header=BB0_34 Depth=1
	s_andn2_saveexec_b64 s[8:9], s[8:9]
; %bb.40:                               ;   in Loop: Header=BB0_34 Depth=1
	v_add_u32_e32 v6, 1, v6
; %bb.41:                               ;   in Loop: Header=BB0_34 Depth=1
	s_or_b64 exec, exec, s[8:9]
                                        ; implicit-def: $vgpr5
.LBB0_42:                               ;   in Loop: Header=BB0_34 Depth=1
	s_andn2_saveexec_b64 s[2:3], s[2:3]
	s_cbranch_execz .LBB0_33
; %bb.43:                               ;   in Loop: Header=BB0_34 Depth=1
	v_cmp_eq_u16_e32 vcc, 48, v5
	s_and_saveexec_b64 s[8:9], vcc
	s_cbranch_execz .LBB0_32
; %bb.44:                               ;   in Loop: Header=BB0_34 Depth=1
	v_add_u32_e32 v8, 1, v8
	s_branch .LBB0_32
.LBB0_45:
	v_add_u32_e32 v9, v8, v6
	v_add_u32_e32 v10, v4, v2
	v_cvt_f32_i32_e32 v5, v8
	v_cvt_f32_i32_e32 v4, v4
	v_add3_u32 v10, v10, v3, 1
	v_add3_u32 v11, v9, v7, 1
	v_cvt_f32_i32_e32 v9, v11
	v_cvt_f32_i32_e32 v8, v10
	v_add_u32_e32 v10, v11, v10
	v_cvt_f32_i32_e32 v16, v10
	v_add_f32_e32 v10, v4, v5
	v_pk_mul_f32 v[10:11], v[10:11], v[8:9] op_sel_hi:[0,1]
	v_cvt_f32_i32_e32 v3, v3
	s_waitcnt lgkmcnt(0)
	v_div_scale_f32 v12, s[2:3], v16, v16, v11
	v_rcp_f32_e32 v13, v12
	v_cvt_f32_i32_e32 v2, v2
	v_cvt_f32_i32_e32 v7, v7
	;; [unrolled: 1-line block ×3, first 2 shown]
	v_fma_f32 v14, -v12, v13, 1.0
	v_fmac_f32_e32 v13, v14, v13
	v_div_scale_f32 v14, vcc, v11, v16, v11
	v_mul_f32_e32 v15, v14, v13
	v_fma_f32 v17, -v12, v15, v14
	v_fmac_f32_e32 v15, v17, v13
	v_fma_f32 v12, -v12, v15, v14
	v_div_scale_f32 v14, s[2:3], v16, v16, v10
	v_rcp_f32_e32 v17, v14
	v_div_fmas_f32 v12, v12, v13, v15
	v_div_fixup_f32 v11, v12, v16, v11
	v_lshl_add_u64 v[0:1], v[0:1], 2, s[0:1]
	v_fma_f32 v12, -v14, v17, 1.0
	v_fmac_f32_e32 v17, v12, v17
	v_div_scale_f32 v12, vcc, v10, v16, v10
	v_mul_f32_e32 v13, v12, v17
	v_fma_f32 v15, -v14, v13, v12
	v_fmac_f32_e32 v13, v15, v17
	v_fma_f32 v12, -v14, v13, v12
	v_div_fmas_f32 v12, v12, v17, v13
	v_div_fixup_f32 v10, v12, v16, v10
	v_pk_add_f32 v[4:5], v[4:5], v[10:11] neg_lo:[0,1] neg_hi:[0,1]
	s_nop 0
	v_pk_mul_f32 v[4:5], v[4:5], v[4:5]
	s_nop 0
	v_div_scale_f32 v12, s[2:3], v11, v11, v5
	v_rcp_f32_e32 v13, v12
	s_nop 0
	v_fma_f32 v14, -v12, v13, 1.0
	v_fmac_f32_e32 v13, v14, v13
	v_div_scale_f32 v14, vcc, v5, v11, v5
	v_mul_f32_e32 v15, v14, v13
	v_fma_f32 v17, -v12, v15, v14
	v_fmac_f32_e32 v15, v17, v13
	v_fma_f32 v12, -v12, v15, v14
	v_div_scale_f32 v14, s[2:3], v10, v10, v4
	v_rcp_f32_e32 v17, v14
	v_div_fmas_f32 v12, v12, v13, v15
	v_div_fixup_f32 v5, v12, v11, v5
	v_fma_f32 v11, -v14, v17, 1.0
	v_fmac_f32_e32 v17, v11, v17
	v_div_scale_f32 v11, vcc, v4, v10, v4
	v_mul_f32_e32 v12, v11, v17
	v_fma_f32 v13, -v14, v12, v11
	v_fmac_f32_e32 v12, v13, v17
	v_fma_f32 v11, -v14, v12, v11
	v_div_fmas_f32 v11, v11, v17, v12
	v_pk_add_f32 v[12:13], v[2:3], v[6:7]
	v_div_fixup_f32 v4, v11, v10, v4
	v_pk_mul_f32 v[14:15], v[12:13], v[8:9] op_sel_hi:[1,0]
	v_add_f32_e32 v4, v4, v5
	v_div_scale_f32 v8, s[2:3], v16, v16, v15
	v_rcp_f32_e32 v17, v8
	v_add_f32_e32 v10, 0, v4
	v_fma_f32 v4, -v8, v17, 1.0
	v_fmac_f32_e32 v17, v4, v17
	v_div_scale_f32 v4, vcc, v15, v16, v15
	v_mul_f32_e32 v5, v4, v17
	v_fma_f32 v11, -v8, v5, v4
	v_fmac_f32_e32 v5, v11, v17
	v_fma_f32 v4, -v8, v5, v4
	v_div_scale_f32 v8, s[2:3], v16, v16, v14
	v_rcp_f32_e32 v11, v8
	v_div_fmas_f32 v4, v4, v17, v5
	v_div_fixup_f32 v5, v4, v16, v15
	v_fma_f32 v4, -v8, v11, 1.0
	v_fmac_f32_e32 v11, v4, v11
	v_div_scale_f32 v4, vcc, v14, v16, v14
	v_mul_f32_e32 v15, v4, v11
	v_fma_f32 v17, -v8, v15, v4
	v_fmac_f32_e32 v15, v17, v11
	v_fma_f32 v17, -v8, v15, v4
	v_mov_b32_e32 v4, v9
	v_pk_mul_f32 v[8:9], v[12:13], v[4:5] op_sel_hi:[1,0]
	v_div_fmas_f32 v4, v17, v11, v15
	v_div_scale_f32 v12, s[2:3], v16, v16, v9
	v_rcp_f32_e32 v13, v12
	v_div_fixup_f32 v4, v4, v16, v14
	v_pk_add_f32 v[2:3], v[2:3], v[4:5] neg_lo:[0,1] neg_hi:[0,1]
	v_fma_f32 v11, -v12, v13, 1.0
	v_fmac_f32_e32 v13, v11, v13
	v_div_scale_f32 v11, vcc, v9, v16, v9
	v_mul_f32_e32 v14, v11, v13
	v_fma_f32 v15, -v12, v14, v11
	v_fmac_f32_e32 v14, v15, v13
	v_fma_f32 v11, -v12, v14, v11
	v_div_scale_f32 v12, s[2:3], v16, v16, v8
	v_rcp_f32_e32 v15, v12
	v_div_fmas_f32 v11, v11, v13, v14
	v_div_fixup_f32 v9, v11, v16, v9
	v_pk_mul_f32 v[2:3], v[2:3], v[2:3]
	v_fma_f32 v11, -v12, v15, 1.0
	v_fmac_f32_e32 v15, v11, v15
	v_div_scale_f32 v11, vcc, v8, v16, v8
	v_mul_f32_e32 v13, v11, v15
	v_fma_f32 v14, -v12, v13, v11
	v_fmac_f32_e32 v13, v14, v15
	v_fma_f32 v11, -v12, v13, v11
	v_div_scale_f32 v12, s[2:3], v5, v5, v3
	v_rcp_f32_e32 v14, v12
	v_div_fmas_f32 v11, v11, v15, v13
	v_div_fixup_f32 v8, v11, v16, v8
	v_pk_add_f32 v[6:7], v[6:7], v[8:9] neg_lo:[0,1] neg_hi:[0,1]
	v_fma_f32 v11, -v12, v14, 1.0
	v_fmac_f32_e32 v14, v11, v14
	v_div_scale_f32 v11, vcc, v3, v5, v3
	v_mul_f32_e32 v13, v11, v14
	v_fma_f32 v15, -v12, v13, v11
	v_fmac_f32_e32 v13, v15, v14
	v_fma_f32 v11, -v12, v13, v11
	v_div_scale_f32 v12, s[2:3], v4, v4, v2
	v_rcp_f32_e32 v15, v12
	v_div_fmas_f32 v11, v11, v14, v13
	v_div_fixup_f32 v3, v11, v5, v3
	v_pk_mul_f32 v[6:7], v[6:7], v[6:7]
	v_fma_f32 v5, -v12, v15, 1.0
	v_fmac_f32_e32 v15, v5, v15
	v_div_scale_f32 v5, vcc, v2, v4, v2
	v_mul_f32_e32 v11, v5, v15
	v_fma_f32 v13, -v12, v11, v5
	v_fmac_f32_e32 v11, v13, v15
	v_fma_f32 v5, -v12, v11, v5
	v_div_scale_f32 v12, s[2:3], v9, v9, v7
	v_rcp_f32_e32 v13, v12
	v_div_fmas_f32 v5, v5, v15, v11
	v_div_fixup_f32 v2, v5, v4, v2
	v_fma_f32 v4, -v12, v13, 1.0
	v_fmac_f32_e32 v13, v4, v13
	v_div_scale_f32 v4, vcc, v7, v9, v7
	v_mul_f32_e32 v5, v4, v13
	v_fma_f32 v11, -v12, v5, v4
	v_fmac_f32_e32 v5, v11, v13
	v_div_scale_f32 v11, s[2:3], v8, v8, v6
	v_fma_f32 v4, -v12, v5, v4
	v_rcp_f32_e32 v12, v11
	v_div_fmas_f32 v4, v4, v13, v5
	v_div_fixup_f32 v5, v4, v9, v7
	v_fma_f32 v4, -v11, v12, 1.0
	v_fmac_f32_e32 v12, v4, v12
	v_div_scale_f32 v4, vcc, v6, v8, v6
	v_mul_f32_e32 v7, v4, v12
	v_fma_f32 v9, -v11, v7, v4
	v_fmac_f32_e32 v7, v9, v12
	v_fma_f32 v4, -v11, v7, v4
	v_div_fmas_f32 v4, v4, v12, v7
	v_div_fixup_f32 v4, v4, v8, v6
	v_pk_add_f32 v[2:3], v[2:3], v[4:5]
	s_nop 0
	v_add_f32_e32 v2, v10, v2
	v_add_f32_e32 v2, v2, v3
	global_store_dword v[0:1], v2, off
.LBB0_46:
	s_endpgm
	.section	.rodata,"a",@progbits
	.p2align	6, 0x0
	.amdhsa_kernel _Z10chi_kerneljjiiPKhPf
		.amdhsa_group_segment_fixed_size 0
		.amdhsa_private_segment_fixed_size 0
		.amdhsa_kernarg_size 288
		.amdhsa_user_sgpr_count 2
		.amdhsa_user_sgpr_dispatch_ptr 0
		.amdhsa_user_sgpr_queue_ptr 0
		.amdhsa_user_sgpr_kernarg_segment_ptr 1
		.amdhsa_user_sgpr_dispatch_id 0
		.amdhsa_user_sgpr_kernarg_preload_length 0
		.amdhsa_user_sgpr_kernarg_preload_offset 0
		.amdhsa_user_sgpr_private_segment_size 0
		.amdhsa_uses_dynamic_stack 0
		.amdhsa_enable_private_segment 0
		.amdhsa_system_sgpr_workgroup_id_x 1
		.amdhsa_system_sgpr_workgroup_id_y 0
		.amdhsa_system_sgpr_workgroup_id_z 0
		.amdhsa_system_sgpr_workgroup_info 0
		.amdhsa_system_vgpr_workitem_id 0
		.amdhsa_next_free_vgpr 18
		.amdhsa_next_free_sgpr 16
		.amdhsa_accum_offset 20
		.amdhsa_reserve_vcc 1
		.amdhsa_float_round_mode_32 0
		.amdhsa_float_round_mode_16_64 0
		.amdhsa_float_denorm_mode_32 3
		.amdhsa_float_denorm_mode_16_64 3
		.amdhsa_dx10_clamp 1
		.amdhsa_ieee_mode 1
		.amdhsa_fp16_overflow 0
		.amdhsa_tg_split 0
		.amdhsa_exception_fp_ieee_invalid_op 0
		.amdhsa_exception_fp_denorm_src 0
		.amdhsa_exception_fp_ieee_div_zero 0
		.amdhsa_exception_fp_ieee_overflow 0
		.amdhsa_exception_fp_ieee_underflow 0
		.amdhsa_exception_fp_ieee_inexact 0
		.amdhsa_exception_int_div_zero 0
	.end_amdhsa_kernel
	.text
.Lfunc_end0:
	.size	_Z10chi_kerneljjiiPKhPf, .Lfunc_end0-_Z10chi_kerneljjiiPKhPf
                                        ; -- End function
	.set _Z10chi_kerneljjiiPKhPf.num_vgpr, 18
	.set _Z10chi_kerneljjiiPKhPf.num_agpr, 0
	.set _Z10chi_kerneljjiiPKhPf.numbered_sgpr, 16
	.set _Z10chi_kerneljjiiPKhPf.num_named_barrier, 0
	.set _Z10chi_kerneljjiiPKhPf.private_seg_size, 0
	.set _Z10chi_kerneljjiiPKhPf.uses_vcc, 1
	.set _Z10chi_kerneljjiiPKhPf.uses_flat_scratch, 0
	.set _Z10chi_kerneljjiiPKhPf.has_dyn_sized_stack, 0
	.set _Z10chi_kerneljjiiPKhPf.has_recursion, 0
	.set _Z10chi_kerneljjiiPKhPf.has_indirect_call, 0
	.section	.AMDGPU.csdata,"",@progbits
; Kernel info:
; codeLenInByte = 2112
; TotalNumSgprs: 22
; NumVgprs: 18
; NumAgprs: 0
; TotalNumVgprs: 18
; ScratchSize: 0
; MemoryBound: 0
; FloatMode: 240
; IeeeMode: 1
; LDSByteSize: 0 bytes/workgroup (compile time only)
; SGPRBlocks: 2
; VGPRBlocks: 2
; NumSGPRsForWavesPerEU: 22
; NumVGPRsForWavesPerEU: 18
; AccumOffset: 20
; Occupancy: 8
; WaveLimiterHint : 0
; COMPUTE_PGM_RSRC2:SCRATCH_EN: 0
; COMPUTE_PGM_RSRC2:USER_SGPR: 2
; COMPUTE_PGM_RSRC2:TRAP_HANDLER: 0
; COMPUTE_PGM_RSRC2:TGID_X_EN: 1
; COMPUTE_PGM_RSRC2:TGID_Y_EN: 0
; COMPUTE_PGM_RSRC2:TGID_Z_EN: 0
; COMPUTE_PGM_RSRC2:TIDIG_COMP_CNT: 0
; COMPUTE_PGM_RSRC3_GFX90A:ACCUM_OFFSET: 4
; COMPUTE_PGM_RSRC3_GFX90A:TG_SPLIT: 0
	.text
	.p2alignl 6, 3212836864
	.fill 256, 4, 3212836864
	.section	.AMDGPU.gpr_maximums,"",@progbits
	.set amdgpu.max_num_vgpr, 0
	.set amdgpu.max_num_agpr, 0
	.set amdgpu.max_num_sgpr, 0
	.text
	.type	__hip_cuid_e9e4706e93a3d4,@object ; @__hip_cuid_e9e4706e93a3d4
	.section	.bss,"aw",@nobits
	.globl	__hip_cuid_e9e4706e93a3d4
__hip_cuid_e9e4706e93a3d4:
	.byte	0                               ; 0x0
	.size	__hip_cuid_e9e4706e93a3d4, 1

	.ident	"AMD clang version 22.0.0git (https://github.com/RadeonOpenCompute/llvm-project roc-7.2.4 26084 f58b06dce1f9c15707c5f808fd002e18c2accf7e)"
	.section	".note.GNU-stack","",@progbits
	.addrsig
	.addrsig_sym __hip_cuid_e9e4706e93a3d4
	.amdgpu_metadata
---
amdhsa.kernels:
  - .agpr_count:     0
    .args:
      - .offset:         0
        .size:           4
        .value_kind:     by_value
      - .offset:         4
        .size:           4
        .value_kind:     by_value
      - .offset:         8
        .size:           4
        .value_kind:     by_value
      - .offset:         12
        .size:           4
        .value_kind:     by_value
      - .actual_access:  read_only
        .address_space:  global
        .offset:         16
        .size:           8
        .value_kind:     global_buffer
      - .actual_access:  write_only
        .address_space:  global
        .offset:         24
        .size:           8
        .value_kind:     global_buffer
      - .offset:         32
        .size:           4
        .value_kind:     hidden_block_count_x
      - .offset:         36
        .size:           4
        .value_kind:     hidden_block_count_y
      - .offset:         40
        .size:           4
        .value_kind:     hidden_block_count_z
      - .offset:         44
        .size:           2
        .value_kind:     hidden_group_size_x
      - .offset:         46
        .size:           2
        .value_kind:     hidden_group_size_y
      - .offset:         48
        .size:           2
        .value_kind:     hidden_group_size_z
      - .offset:         50
        .size:           2
        .value_kind:     hidden_remainder_x
      - .offset:         52
        .size:           2
        .value_kind:     hidden_remainder_y
      - .offset:         54
        .size:           2
        .value_kind:     hidden_remainder_z
      - .offset:         72
        .size:           8
        .value_kind:     hidden_global_offset_x
      - .offset:         80
        .size:           8
        .value_kind:     hidden_global_offset_y
      - .offset:         88
        .size:           8
        .value_kind:     hidden_global_offset_z
      - .offset:         96
        .size:           2
        .value_kind:     hidden_grid_dims
    .group_segment_fixed_size: 0
    .kernarg_segment_align: 8
    .kernarg_segment_size: 288
    .language:       OpenCL C
    .language_version:
      - 2
      - 0
    .max_flat_workgroup_size: 1024
    .name:           _Z10chi_kerneljjiiPKhPf
    .private_segment_fixed_size: 0
    .sgpr_count:     22
    .sgpr_spill_count: 0
    .symbol:         _Z10chi_kerneljjiiPKhPf.kd
    .uniform_work_group_size: 1
    .uses_dynamic_stack: false
    .vgpr_count:     18
    .vgpr_spill_count: 0
    .wavefront_size: 64
amdhsa.target:   amdgcn-amd-amdhsa--gfx950
amdhsa.version:
  - 1
  - 2
...

	.end_amdgpu_metadata
